;; amdgpu-corpus repo=ROCm/rocFFT kind=compiled arch=gfx906 opt=O3
	.text
	.amdgcn_target "amdgcn-amd-amdhsa--gfx906"
	.amdhsa_code_object_version 6
	.protected	fft_rtc_back_len216_factors_9_6_2_2_wgs_252_tpt_18_dim3_sp_ip_CI_sbcc_twdbase8_3step_dirReg_intrinsicReadWrite ; -- Begin function fft_rtc_back_len216_factors_9_6_2_2_wgs_252_tpt_18_dim3_sp_ip_CI_sbcc_twdbase8_3step_dirReg_intrinsicReadWrite
	.globl	fft_rtc_back_len216_factors_9_6_2_2_wgs_252_tpt_18_dim3_sp_ip_CI_sbcc_twdbase8_3step_dirReg_intrinsicReadWrite
	.p2align	8
	.type	fft_rtc_back_len216_factors_9_6_2_2_wgs_252_tpt_18_dim3_sp_ip_CI_sbcc_twdbase8_3step_dirReg_intrinsicReadWrite,@function
fft_rtc_back_len216_factors_9_6_2_2_wgs_252_tpt_18_dim3_sp_ip_CI_sbcc_twdbase8_3step_dirReg_intrinsicReadWrite: ; @fft_rtc_back_len216_factors_9_6_2_2_wgs_252_tpt_18_dim3_sp_ip_CI_sbcc_twdbase8_3step_dirReg_intrinsicReadWrite
; %bb.0:
	s_load_dwordx4 s[0:3], s[4:5], 0x10
	s_mov_b32 s7, 0
	s_mov_b64 s[20:21], 0
	s_waitcnt lgkmcnt(0)
	s_load_dwordx2 s[10:11], s[0:1], 0x8
	s_waitcnt lgkmcnt(0)
	s_add_u32 s8, s10, -1
	s_addc_u32 s9, s11, -1
	s_add_u32 s12, 0, 0x49240800
	s_addc_u32 s13, 0, 50
	s_mul_hi_u32 s15, s12, -14
	s_add_i32 s13, s13, 0x12492460
	s_sub_i32 s15, s15, s12
	s_mul_i32 s18, s13, -14
	s_mul_i32 s14, s12, -14
	s_add_i32 s15, s15, s18
	s_mul_hi_u32 s16, s13, s14
	s_mul_i32 s17, s13, s14
	s_mul_i32 s19, s12, s15
	s_mul_hi_u32 s14, s12, s14
	s_mul_hi_u32 s18, s12, s15
	s_add_u32 s14, s14, s19
	s_addc_u32 s18, 0, s18
	s_add_u32 s14, s14, s17
	s_mul_hi_u32 s19, s13, s15
	s_addc_u32 s14, s18, s16
	s_addc_u32 s16, s19, 0
	s_mul_i32 s15, s13, s15
	s_add_u32 s14, s14, s15
	v_mov_b32_e32 v1, s14
	s_addc_u32 s15, 0, s16
	v_add_co_u32_e32 v1, vcc, s12, v1
	s_cmp_lg_u64 vcc, 0
	s_addc_u32 s12, s13, s15
	v_readfirstlane_b32 s15, v1
	s_mul_i32 s14, s8, s12
	s_mul_hi_u32 s16, s8, s15
	s_mul_hi_u32 s13, s8, s12
	s_add_u32 s14, s16, s14
	s_addc_u32 s13, 0, s13
	s_mul_hi_u32 s17, s9, s15
	s_mul_i32 s15, s9, s15
	s_add_u32 s14, s14, s15
	s_mul_hi_u32 s16, s9, s12
	s_addc_u32 s13, s13, s17
	s_addc_u32 s14, s16, 0
	s_mul_i32 s12, s9, s12
	s_add_u32 s12, s13, s12
	s_addc_u32 s13, 0, s14
	s_add_u32 s14, s12, 1
	s_addc_u32 s15, s13, 0
	s_add_u32 s16, s12, 2
	s_mul_i32 s18, s13, 14
	s_mul_hi_u32 s19, s12, 14
	s_addc_u32 s17, s13, 0
	s_add_i32 s19, s19, s18
	s_mul_i32 s18, s12, 14
	v_mov_b32_e32 v1, s18
	v_sub_co_u32_e32 v1, vcc, s8, v1
	s_cmp_lg_u64 vcc, 0
	s_subb_u32 s8, s9, s19
	v_subrev_co_u32_e32 v2, vcc, 14, v1
	s_cmp_lg_u64 vcc, 0
	s_subb_u32 s9, s8, 0
	v_readfirstlane_b32 s18, v2
	s_cmp_gt_u32 s18, 13
	s_cselect_b32 s18, -1, 0
	s_cmp_eq_u32 s9, 0
	s_cselect_b32 s9, s18, -1
	s_cmp_lg_u32 s9, 0
	s_cselect_b32 s9, s16, s14
	s_cselect_b32 s14, s17, s15
	v_readfirstlane_b32 s15, v1
	s_cmp_gt_u32 s15, 13
	s_cselect_b32 s15, -1, 0
	s_cmp_eq_u32 s8, 0
	s_cselect_b32 s8, s15, -1
	s_cmp_lg_u32 s8, 0
	s_cselect_b32 s9, s9, s12
	s_cselect_b32 s8, s14, s13
	s_add_u32 s18, s9, 1
	s_addc_u32 s19, s8, 0
	v_mov_b32_e32 v1, s18
	v_mov_b32_e32 v2, s19
	v_cmp_lt_u64_e32 vcc, s[6:7], v[1:2]
	s_cbranch_vccnz .LBB0_2
; %bb.1:
	v_cvt_f32_u32_e32 v1, s18
	s_sub_i32 s8, 0, s18
	s_mov_b32 s21, s7
	v_rcp_iflag_f32_e32 v1, v1
	v_mul_f32_e32 v1, 0x4f7ffffe, v1
	v_cvt_u32_f32_e32 v1, v1
	v_readfirstlane_b32 s9, v1
	s_mul_i32 s8, s8, s9
	s_mul_hi_u32 s8, s9, s8
	s_add_i32 s9, s9, s8
	s_mul_hi_u32 s8, s6, s9
	s_mul_i32 s12, s8, s18
	s_sub_i32 s12, s6, s12
	s_add_i32 s9, s8, 1
	s_sub_i32 s13, s12, s18
	s_cmp_ge_u32 s12, s18
	s_cselect_b32 s8, s9, s8
	s_cselect_b32 s12, s13, s12
	s_add_i32 s9, s8, 1
	s_cmp_ge_u32 s12, s18
	s_cselect_b32 s20, s9, s8
.LBB0_2:
	s_load_dwordx2 s[22:23], s[0:1], 0x10
	s_load_dwordx2 s[8:9], s[4:5], 0x50
	s_load_dwordx4 s[12:15], s[2:3], 0x0
	s_mov_b64 s[0:1], s[20:21]
	s_waitcnt lgkmcnt(0)
	v_mov_b32_e32 v1, s22
	v_mov_b32_e32 v2, s23
	v_cmp_lt_u64_e32 vcc, s[20:21], v[1:2]
	s_cbranch_vccnz .LBB0_4
; %bb.3:
	v_cvt_f32_u32_e32 v1, s22
	s_sub_i32 s0, 0, s22
	v_rcp_iflag_f32_e32 v1, v1
	v_mul_f32_e32 v1, 0x4f7ffffe, v1
	v_cvt_u32_f32_e32 v1, v1
	v_readfirstlane_b32 s1, v1
	s_mul_i32 s0, s0, s1
	s_mul_hi_u32 s0, s1, s0
	s_add_i32 s1, s1, s0
	s_mul_hi_u32 s0, s20, s1
	s_mul_i32 s0, s0, s22
	s_sub_i32 s0, s20, s0
	s_sub_i32 s1, s0, s22
	s_cmp_ge_u32 s0, s22
	s_cselect_b32 s0, s1, s0
	s_sub_i32 s1, s0, s22
	s_cmp_ge_u32 s0, s22
	s_cselect_b32 s0, s1, s0
.LBB0_4:
	s_mul_i32 s1, s22, s19
	s_mul_hi_u32 s13, s22, s18
	s_add_i32 s1, s13, s1
	s_mul_i32 s13, s23, s18
	s_mul_i32 s24, s22, s18
	s_load_dwordx2 s[16:17], s[4:5], 0x0
	s_add_i32 s25, s1, s13
	s_load_dwordx2 s[22:23], s[2:3], 0x10
	v_mov_b32_e32 v1, s24
	v_mov_b32_e32 v2, s25
	v_cmp_lt_u64_e32 vcc, s[6:7], v[1:2]
	s_mov_b64 s[26:27], 0
	s_cbranch_vccnz .LBB0_6
; %bb.5:
	v_cvt_f32_u32_e32 v1, s24
	s_sub_i32 s1, 0, s24
	v_rcp_iflag_f32_e32 v1, v1
	v_mul_f32_e32 v1, 0x4f7ffffe, v1
	v_cvt_u32_f32_e32 v1, v1
	v_readfirstlane_b32 s7, v1
	s_mul_i32 s1, s1, s7
	s_mul_hi_u32 s1, s7, s1
	s_add_i32 s7, s7, s1
	s_mul_hi_u32 s1, s6, s7
	s_mul_i32 s13, s1, s24
	s_sub_i32 s13, s6, s13
	s_add_i32 s7, s1, 1
	s_sub_i32 s15, s13, s24
	s_cmp_ge_u32 s13, s24
	s_cselect_b32 s1, s7, s1
	s_cselect_b32 s13, s15, s13
	s_add_i32 s7, s1, 1
	s_cmp_ge_u32 s13, s24
	s_cselect_b32 s26, s7, s1
.LBB0_6:
	s_mul_i32 s1, s20, s19
	s_mul_hi_u32 s7, s20, s18
	s_add_i32 s7, s7, s1
	s_mul_i32 s1, s20, s18
	s_load_dword s2, s[2:3], 0x18
	s_sub_u32 s1, s6, s1
	v_mul_u32_u24_e32 v1, 0x124a, v0
	s_subb_u32 s6, 0, s7
	v_lshrrev_b32_e32 v22, 16, v1
	s_mul_i32 s6, s6, 14
	s_mul_hi_u32 s7, s1, 14
	s_mul_i32 s1, s1, 14
	v_mul_lo_u16_e32 v1, 14, v22
	s_add_i32 s6, s7, s6
	s_mul_i32 s3, s14, s1
	s_waitcnt lgkmcnt(0)
	s_mul_i32 s0, s22, s0
	v_sub_u16_e32 v24, v0, v1
	s_add_i32 s0, s0, s3
	s_mul_i32 s2, s2, s26
	v_mov_b32_e32 v1, s6
	v_add_co_u32_e32 v3, vcc, s1, v24
	s_add_i32 s7, s2, s0
	v_addc_co_u32_e32 v4, vcc, 0, v1, vcc
	v_mad_u64_u32 v[1:2], s[2:3], s14, v24, 0
	s_add_u32 s0, s1, 14
	v_mul_lo_u32 v2, s12, v22
	v_mov_b32_e32 v5, s10
	s_addc_u32 s1, s6, 0
	v_mov_b32_e32 v6, s11
	v_cmp_le_u64_e64 s[0:1], s[0:1], v[5:6]
	v_cmp_gt_u64_e32 vcc, s[10:11], v[3:4]
	v_add_lshl_u32 v2, v1, v2, 3
	v_cndmask_b32_e64 v4, 0, 1, vcc
	s_or_b64 vcc, s[0:1], vcc
	v_cndmask_b32_e32 v33, -1, v2, vcc
	v_add_u32_e32 v2, 24, v22
	v_mul_lo_u32 v2, s12, v2
	v_or_b32_e32 v5, 0xc0, v22
	v_mul_lo_u32 v5, s12, v5
	v_add_u32_e32 v7, 48, v22
	v_add_lshl_u32 v2, v1, v2, 3
	v_cndmask_b32_e32 v6, -1, v2, vcc
	v_add_u32_e32 v2, 0x48, v22
	v_mul_lo_u32 v7, s12, v7
	v_mul_lo_u32 v8, s12, v2
	v_add_lshl_u32 v5, v1, v5, 3
	s_lshl_b32 s13, s7, 3
	s_mov_b32 s11, 0x20000
	s_mov_b32 s10, -2
	v_cndmask_b32_e32 v5, -1, v5, vcc
	buffer_load_dwordx2 v[10:11], v5, s[8:11], s13 offen
	v_add_lshl_u32 v5, v1, v7, 3
	v_add_lshl_u32 v7, v1, v8, 3
	v_add_u32_e32 v8, 0xa8, v22
	v_mul_lo_u32 v8, s12, v8
	v_add_u32_e32 v9, 0x90, v22
	v_mul_lo_u32 v9, s12, v9
	v_cndmask_b32_e32 v5, -1, v5, vcc
	v_cndmask_b32_e32 v7, -1, v7, vcc
	buffer_load_dwordx2 v[12:13], v6, s[8:11], s13 offen
	buffer_load_dwordx2 v[14:15], v5, s[8:11], s13 offen
	;; [unrolled: 1-line block ×3, first 2 shown]
	v_add_lshl_u32 v5, v1, v8, 3
	v_cndmask_b32_e32 v5, -1, v5, vcc
	v_add_lshl_u32 v6, v1, v9, 3
	buffer_load_dwordx2 v[18:19], v5, s[8:11], s13 offen
	v_cndmask_b32_e32 v5, -1, v6, vcc
	v_or_b32_e32 v6, 0x60, v22
	v_mul_lo_u32 v6, s12, v6
	buffer_load_dwordx2 v[20:21], v5, s[8:11], s13 offen
	s_movk_i32 s2, 0x53
	s_movk_i32 s3, 0x54
	v_add_lshl_u32 v6, v1, v6, 3
	v_cndmask_b32_e32 v6, -1, v6, vcc
	buffer_load_dwordx2 v[25:26], v6, s[8:11], s13 offen
	v_add_u32_e32 v5, 0x78, v22
	v_mul_lo_u32 v5, s12, v5
	v_add_u32_e32 v23, 18, v22
	v_add_u32_e32 v6, 42, v22
	v_cmp_lt_u32_e64 s[6:7], s2, v0
	v_add_lshl_u32 v5, v1, v5, 3
	v_cndmask_b32_e32 v5, -1, v5, vcc
	buffer_load_dwordx2 v[27:28], v5, s[8:11], s13 offen
	buffer_load_dwordx2 v[29:30], v33, s[8:11], s13 offen
	v_cmp_gt_u32_e64 s[2:3], s3, v0
	v_add_u32_e32 v7, 0x42, v22
	v_mul_lo_u32 v8, s12, v23
	v_mul_lo_u32 v6, s12, v6
	v_cndmask_b32_e64 v5, 0, 1, s[2:3]
	v_mul_lo_u32 v7, s12, v7
	s_or_b64 s[0:1], s[6:7], s[0:1]
	v_cndmask_b32_e64 v4, v4, v5, s[0:1]
	v_and_b32_e32 v4, 1, v4
	v_add_lshl_u32 v35, v1, v8, 3
	v_add_lshl_u32 v5, v1, v6, 3
	v_cmp_eq_u32_e64 s[0:1], 1, v4
	v_add_lshl_u32 v6, v1, v7, 3
	v_cndmask_b32_e64 v31, -1, v35, s[0:1]
	v_cndmask_b32_e64 v32, -1, v5, s[0:1]
	;; [unrolled: 1-line block ×3, first 2 shown]
	buffer_load_dwordx2 v[4:5], v31, s[8:11], s13 offen
	buffer_load_dwordx2 v[6:7], v32, s[8:11], s13 offen
	;; [unrolled: 1-line block ×3, first 2 shown]
	s_mov_b32 s6, 0xbf248dbb
	s_movk_i32 s14, 0x3f0
	v_add_u32_e32 v34, 0x5a, v22
	s_waitcnt vmcnt(10)
	v_add_f32_e32 v38, v12, v10
	v_add_f32_e32 v39, v13, v11
	v_sub_f32_e32 v40, v12, v10
	v_sub_f32_e32 v41, v13, v11
	s_waitcnt vmcnt(7)
	v_add_f32_e32 v42, v14, v18
	v_add_f32_e32 v43, v15, v19
	;; [unrolled: 1-line block ×4, first 2 shown]
	s_waitcnt vmcnt(6)
	v_add_f32_e32 v46, v16, v20
	v_add_f32_e32 v47, v17, v21
	;; [unrolled: 1-line block ×4, first 2 shown]
	v_sub_f32_e32 v44, v14, v18
	s_waitcnt vmcnt(5)
	v_add_f32_e32 v10, v25, v10
	v_add_f32_e32 v11, v26, v11
	v_sub_f32_e32 v45, v15, v19
	v_sub_f32_e32 v48, v16, v20
	;; [unrolled: 1-line block ×3, first 2 shown]
	v_add_u32_e32 v15, 0x72, v22
	v_mul_lo_u32 v15, s12, v15
	s_waitcnt vmcnt(4)
	v_sub_f32_e32 v52, v25, v27
	v_add_f32_e32 v10, v27, v10
	v_add_f32_e32 v11, v28, v11
	v_sub_f32_e32 v53, v26, v28
	v_add_f32_e32 v54, v25, v27
	v_add_f32_e32 v55, v26, v28
	s_waitcnt vmcnt(3)
	v_add_f32_e32 v26, v10, v29
	v_add_f32_e32 v27, v11, v30
	;; [unrolled: 1-line block ×3, first 2 shown]
	v_mul_f32_e32 v10, 0x3f7c1c5c, v52
	v_mov_b32_e32 v57, v30
	v_mov_b32_e32 v36, v30
	v_fmac_f32_e32 v30, 0x3f441b7d, v43
	v_add_f32_e32 v31, v46, v29
	v_fma_f32 v12, v44, s6, -v10
	v_mul_f32_e32 v10, 0x3f7c1c5c, v53
	v_mov_b32_e32 v56, v29
	v_mov_b32_e32 v28, v29
	v_fmac_f32_e32 v29, 0x3f441b7d, v42
	v_fmac_f32_e32 v30, 0x3e31d0d4, v55
	v_fma_f32 v14, v45, s6, -v10
	v_fmac_f32_e32 v12, 0x3f5db3d7, v48
	v_fmac_f32_e32 v29, 0x3e31d0d4, v54
	v_fmac_f32_e32 v30, -0.5, v47
	v_fmac_f32_e32 v14, 0x3f5db3d7, v49
	v_fmac_f32_e32 v12, 0x3eaf1d44, v40
	v_fmac_f32_e32 v29, -0.5, v46
	v_fmac_f32_e32 v30, 0xbf708fb2, v39
	v_fmac_f32_e32 v14, 0x3eaf1d44, v41
	;; [unrolled: 1-line block ×3, first 2 shown]
	v_add_f32_e32 v11, v12, v30
	v_sub_f32_e32 v10, v29, v14
	v_mov_b32_e32 v13, v11
	v_fmac_f32_e32 v13, -2.0, v12
	v_mov_b32_e32 v12, v10
	v_fmac_f32_e32 v12, 2.0, v14
	v_mad_u32_u24 v14, v22, s14, 0
	v_lshl_add_u32 v25, v24, 3, v14
	v_mul_lo_u32 v14, s12, v34
	ds_write2_b64 v25, v[10:11], v[12:13] offset0:56 offset1:70
	v_add_u32_e32 v11, 0x8a, v22
	v_mul_lo_u32 v11, s12, v11
	v_add_u32_e32 v12, 0xa2, v22
	v_mul_lo_u32 v12, s12, v12
	v_add_lshl_u32 v10, v1, v14, 3
	v_cndmask_b32_e64 v29, -1, v10, s[0:1]
	v_add_lshl_u32 v10, v1, v15, 3
	v_cndmask_b32_e64 v30, -1, v10, s[0:1]
	v_add_lshl_u32 v10, v1, v11, 3
	v_add_u32_e32 v11, 0xba, v22
	v_cndmask_b32_e64 v37, -1, v10, s[0:1]
	v_add_lshl_u32 v10, v1, v12, 3
	v_mul_lo_u32 v11, s12, v11
	v_add_u32_e32 v12, 0xd2, v22
	v_mul_lo_u32 v12, s12, v12
	v_cndmask_b32_e64 v58, -1, v10, s[0:1]
	v_add_lshl_u32 v10, v1, v11, 3
	v_cndmask_b32_e64 v59, -1, v10, s[0:1]
	v_add_lshl_u32 v10, v1, v12, 3
	v_cndmask_b32_e64 v60, -1, v10, s[0:1]
	buffer_load_dwordx2 v[14:15], v29, s[8:11], s13 offen
	buffer_load_dwordx2 v[10:11], v30, s[8:11], s13 offen
	buffer_load_dwordx2 v[12:13], v37, s[8:11], s13 offen
	buffer_load_dwordx2 v[18:19], v58, s[8:11], s13 offen
	buffer_load_dwordx2 v[20:21], v59, s[8:11], s13 offen
	buffer_load_dwordx2 v[16:17], v60, s[8:11], s13 offen
	v_mul_f32_e32 v30, 0xbf248dbb, v52
	v_mul_f32_e32 v37, 0xbf248dbb, v53
	v_fmac_f32_e32 v28, 0x3f441b7d, v54
	v_fmac_f32_e32 v36, 0x3f441b7d, v55
	;; [unrolled: 1-line block ×8, first 2 shown]
	v_fmac_f32_e32 v28, -0.5, v46
	v_fmac_f32_e32 v36, -0.5, v47
	v_fmac_f32_e32 v30, 0x3eaf1d44, v44
	v_fmac_f32_e32 v37, 0x3eaf1d44, v45
	v_fmac_f32_e32 v28, 0xbf708fb2, v42
	v_fmac_f32_e32 v36, 0xbf708fb2, v43
	v_sub_f32_e32 v28, v28, v37
	v_add_f32_e32 v29, v30, v36
	v_fma_f32 v36, 2.0, v37, v28
	v_fma_f32 v37, -2.0, v30, v29
	v_add_f32_e32 v30, v54, v50
	v_fmac_f32_e32 v31, -0.5, v30
	v_add_f32_e32 v30, v55, v51
	v_fmac_f32_e32 v32, -0.5, v30
	v_add_f32_e32 v30, v52, v40
	v_add_f32_e32 v50, v53, v41
	v_sub_f32_e32 v30, v30, v44
	v_sub_f32_e32 v50, v50, v45
	v_fmac_f32_e32 v31, 0xbf5db3d7, v50
	v_fmac_f32_e32 v32, 0x3f5db3d7, v30
	ds_write2_b64 v25, v[28:29], v[31:32] offset0:28 offset1:42
	v_mul_f32_e32 v28, 0x3f5db3d7, v50
	v_mul_f32_e32 v29, 0x3f5db3d7, v30
	v_fma_f32 v28, 2.0, v28, v31
	v_mul_f32_e32 v30, 0x3f248dbb, v40
	v_mul_f32_e32 v31, 0x3f248dbb, v41
	v_fmac_f32_e32 v56, 0x3f441b7d, v38
	v_fmac_f32_e32 v57, 0x3f441b7d, v39
	;; [unrolled: 1-line block ×8, first 2 shown]
	v_fmac_f32_e32 v56, -0.5, v46
	v_fmac_f32_e32 v57, -0.5, v47
	v_fma_f32 v29, -2.0, v29, v32
	v_fmac_f32_e32 v30, 0x3eaf1d44, v52
	v_fmac_f32_e32 v31, 0x3eaf1d44, v53
	;; [unrolled: 1-line block ×4, first 2 shown]
	ds_write2_b64 v25, v[28:29], v[36:37] offset0:84 offset1:98
	v_sub_f32_e32 v28, v56, v31
	v_add_f32_e32 v29, v30, v57
	ds_write2_b64 v25, v[26:27], v[28:29] offset1:14
	v_fma_f32 v26, 2.0, v31, v28
	v_fma_f32 v27, -2.0, v30, v29
	ds_write_b64 v25, v[26:27] offset:896
	s_and_saveexec_b64 s[0:1], s[2:3]
	s_cbranch_execz .LBB0_8
; %bb.7:
	s_waitcnt vmcnt(3)
	v_sub_f32_e32 v36, v10, v12
	s_waitcnt vmcnt(1)
	v_add_f32_e32 v38, v9, v21
	v_mov_b32_e32 v27, v5
	v_sub_f32_e32 v32, v8, v20
	v_mul_f32_e32 v26, 0x3f7c1c5c, v36
	v_add_f32_e32 v37, v11, v13
	v_fmac_f32_e32 v27, 0x3f441b7d, v38
	v_sub_f32_e32 v42, v11, v13
	v_add_f32_e32 v20, v8, v20
	v_mov_b32_e32 v8, v4
	v_sub_f32_e32 v31, v14, v18
	v_fma_f32 v26, v32, s6, -v26
	v_fmac_f32_e32 v27, 0x3e31d0d4, v37
	v_add_f32_e32 v39, v15, v19
	s_waitcnt vmcnt(0)
	v_add_f32_e32 v40, v7, v17
	v_sub_f32_e32 v41, v7, v17
	v_sub_f32_e32 v21, v9, v21
	v_mul_f32_e32 v7, 0x3f7c1c5c, v42
	v_add_f32_e32 v43, v10, v12
	v_fmac_f32_e32 v8, 0x3f441b7d, v20
	v_sub_f32_e32 v30, v6, v16
	v_fmac_f32_e32 v26, 0x3f5db3d7, v31
	v_fmac_f32_e32 v27, -0.5, v39
	v_sub_f32_e32 v19, v15, v19
	v_fma_f32 v7, v21, s6, -v7
	v_fmac_f32_e32 v8, 0x3e31d0d4, v43
	v_add_f32_e32 v18, v14, v18
	v_fmac_f32_e32 v26, 0x3eaf1d44, v30
	v_fmac_f32_e32 v27, 0xbf708fb2, v40
	;; [unrolled: 1-line block ×3, first 2 shown]
	v_fmac_f32_e32 v8, -0.5, v18
	v_add_f32_e32 v16, v6, v16
	v_add_f32_e32 v27, v26, v27
	v_fmac_f32_e32 v7, 0x3eaf1d44, v41
	v_fmac_f32_e32 v8, 0xbf708fb2, v16
	v_fma_f32 v29, -2.0, v26, v27
	v_sub_f32_e32 v26, v8, v7
	v_add_f32_e32 v8, v38, v40
	v_add_f32_e32 v6, v39, v8
	;; [unrolled: 1-line block ×5, first 2 shown]
	v_fma_f32 v28, 2.0, v7, v26
	v_add_f32_e32 v7, v6, v5
	v_add_f32_e32 v6, v18, v13
	;; [unrolled: 1-line block ×4, first 2 shown]
	v_sub_f32_e32 v10, v9, v32
	v_add_f32_e32 v9, v39, v5
	v_add_f32_e32 v8, v37, v8
	v_fmac_f32_e32 v9, -0.5, v8
	v_add_f32_e32 v8, v42, v41
	v_mul_f32_e32 v11, 0x3f5db3d7, v10
	v_fmac_f32_e32 v9, 0x3f5db3d7, v10
	v_sub_f32_e32 v10, v8, v21
	v_add_f32_e32 v8, v18, v4
	v_add_f32_e32 v13, v43, v13
	v_fmac_f32_e32 v8, -0.5, v13
	v_add_f32_e32 v6, v12, v6
	v_mul_f32_e32 v12, 0x3f5db3d7, v10
	v_fmac_f32_e32 v8, 0xbf5db3d7, v10
	v_mov_b32_e32 v13, v5
	v_fma_f32 v10, 2.0, v12, v8
	v_mul_f32_e32 v12, 0xbf248dbb, v36
	v_fmac_f32_e32 v13, 0x3f441b7d, v37
	v_fmac_f32_e32 v12, 0x3f7c1c5c, v30
	;; [unrolled: 1-line block ×4, first 2 shown]
	v_fmac_f32_e32 v13, -0.5, v39
	v_fmac_f32_e32 v12, 0x3eaf1d44, v32
	v_fmac_f32_e32 v13, 0xbf708fb2, v38
	v_add_f32_e32 v13, v12, v13
	v_add_f32_e32 v6, v6, v4
	v_fma_f32 v15, -2.0, v12, v13
	v_mov_b32_e32 v12, v4
	v_mul_f32_e32 v17, 0x3f248dbb, v30
	v_fmac_f32_e32 v5, 0x3f441b7d, v40
	v_mul_f32_e32 v30, 0x3f248dbb, v41
	v_fmac_f32_e32 v4, 0x3f441b7d, v16
	;; [unrolled: 2-line block ×3, first 2 shown]
	v_fmac_f32_e32 v17, 0x3f7c1c5c, v32
	v_fmac_f32_e32 v5, 0x3e31d0d4, v38
	;; [unrolled: 1-line block ×7, first 2 shown]
	v_fmac_f32_e32 v5, -0.5, v39
	v_fmac_f32_e32 v30, 0x3f5db3d7, v19
	v_fmac_f32_e32 v4, -0.5, v18
	v_fmac_f32_e32 v14, 0xbf5db3d7, v19
	;; [unrolled: 2-line block ×3, first 2 shown]
	v_fmac_f32_e32 v5, 0xbf708fb2, v37
	v_fmac_f32_e32 v30, 0x3eaf1d44, v42
	;; [unrolled: 1-line block ×5, first 2 shown]
	v_add_f32_e32 v5, v17, v5
	v_sub_f32_e32 v4, v4, v30
	v_add_u32_e32 v18, 0x4000, v25
	v_sub_f32_e32 v12, v12, v14
	v_mov_b32_e32 v16, v4
	ds_write2_b64 v18, v[6:7], v[4:5] offset0:220 offset1:234
	v_add_u32_e32 v4, 0x4400, v25
	ds_write2_b64 v4, v[12:13], v[8:9] offset0:120 offset1:134
	v_add_u32_e32 v4, 0x4800, v25
	v_fma_f32 v11, -2.0, v11, v9
	v_fma_f32 v14, 2.0, v14, v12
	v_fma_f32 v17, -2.0, v17, v5
	v_fmac_f32_e32 v16, 2.0, v30
	ds_write2_b64 v4, v[26:27], v[28:29] offset0:20 offset1:34
	ds_write2_b64 v4, v[10:11], v[14:15] offset0:48 offset1:62
	ds_write_b64 v25, v[16:17] offset:19040
.LBB0_8:
	s_or_b64 exec, exec, s[0:1]
	s_waitcnt vmcnt(8)
	v_mul_u32_u24_e32 v4, 0x70, v22
	s_waitcnt vmcnt(4)
	v_lshlrev_b32_e32 v10, 3, v24
	v_add3_u32 v6, 0, v4, v10
	v_add_u32_e32 v4, 0xfc0, v6
	s_waitcnt vmcnt(0) lgkmcnt(0)
	s_barrier
	ds_read2_b64 v[17:20], v4 offset1:252
	v_add_u32_e32 v4, 0x1f80, v6
	ds_read2_b64 v[24:27], v4 offset1:252
	v_mul_lo_u16_e32 v4, 29, v22
	v_lshrrev_b16_e32 v5, 8, v4
	v_mul_lo_u16_e32 v4, 9, v5
	v_sub_u16_e32 v4, v22, v4
	v_and_b32_e32 v11, 0xff, v4
	v_mul_u32_u24_e32 v4, 5, v11
	v_add_u32_e32 v8, 0x2f40, v6
	v_add_u32_e32 v9, 0x3f00, v6
	;; [unrolled: 1-line block ×3, first 2 shown]
	v_lshlrev_b32_e32 v4, 3, v4
	ds_read2_b64 v[13:16], v6 offset1:252
	ds_read2_b64 v[28:31], v8 offset1:252
	;; [unrolled: 1-line block ×4, first 2 shown]
	global_load_dwordx2 v[53:54], v4, s[16:17] offset:32
	global_load_dwordx4 v[45:48], v4, s[16:17] offset:16
	global_load_dwordx4 v[49:52], v4, s[16:17]
	v_mad_u32_u24 v5, v5, 54, v11
	v_mul_u32_u24_e32 v5, 0x70, v5
	v_add3_u32 v5, 0, v5, v10
	v_add_u32_e32 v11, 0x400, v5
	s_movk_i32 s0, 0x2f4
	v_cmp_gt_u32_e64 s[2:3], s0, v0
	s_load_dwordx2 s[6:7], s[4:5], 0x8
	v_add_u32_e32 v36, 36, v22
	s_movk_i32 s15, 0x6c
	s_waitcnt vmcnt(0) lgkmcnt(0)
	v_mul_f32_e32 v4, v50, v17
	v_fma_f32 v32, v49, v18, -v4
	v_mul_f32_e32 v55, v52, v25
	v_mul_f32_e32 v4, v52, v24
	v_fmac_f32_e32 v55, v51, v24
	v_fma_f32 v24, v51, v25, -v4
	v_mul_f32_e32 v25, v46, v29
	v_mul_f32_e32 v4, v46, v28
	v_fmac_f32_e32 v25, v45, v28
	v_fma_f32 v28, v45, v29, -v4
	v_mul_f32_e32 v29, v48, v38
	v_mul_f32_e32 v4, v48, v37
	v_fmac_f32_e32 v29, v47, v37
	v_fma_f32 v37, v47, v38, -v4
	v_mul_f32_e32 v38, v42, v54
	v_mul_f32_e32 v4, v41, v54
	v_fmac_f32_e32 v38, v41, v53
	v_fma_f32 v41, v42, v53, -v4
	v_mul_lo_u16_e32 v4, 57, v23
	v_lshrrev_b16_e32 v4, 9, v4
	v_mul_lo_u16_e32 v12, 9, v4
	v_sub_u16_e32 v12, v23, v12
	v_mul_f32_e32 v21, v50, v18
	v_and_b32_e32 v12, 0xff, v12
	v_fmac_f32_e32 v21, v49, v17
	v_mul_u32_u24_e32 v17, 5, v12
	v_lshlrev_b32_e32 v42, 3, v17
	global_load_dwordx2 v[17:18], v42, s[16:17] offset:32
	global_load_dwordx4 v[45:48], v42, s[16:17] offset:16
	global_load_dwordx4 v[49:52], v42, s[16:17]
	v_mad_u32_u24 v4, v4, 54, v12
	v_mul_u32_u24_e32 v4, 0x70, v4
	s_waitcnt vmcnt(0)
	s_barrier
	v_add3_u32 v4, 0, v4, v10
	v_mov_b32_e32 v12, s17
	v_mul_f32_e32 v42, v20, v50
	v_fmac_f32_e32 v42, v19, v49
	v_mul_f32_e32 v19, v19, v50
	v_fma_f32 v49, v20, v49, -v19
	v_mul_f32_e32 v50, v27, v52
	v_mul_f32_e32 v19, v26, v52
	v_fmac_f32_e32 v50, v26, v51
	v_fma_f32 v51, v27, v51, -v19
	v_mul_f32_e32 v52, v31, v46
	v_mul_f32_e32 v19, v30, v46
	v_fmac_f32_e32 v52, v30, v45
	;; [unrolled: 4-line block ×4, first 2 shown]
	v_fma_f32 v43, v44, v17, -v18
	v_add_f32_e32 v17, v13, v55
	v_add_f32_e32 v26, v17, v29
	;; [unrolled: 1-line block ×3, first 2 shown]
	v_fma_f32 v27, -0.5, v17, v13
	v_sub_f32_e32 v13, v24, v37
	v_mov_b32_e32 v44, v27
	v_fmac_f32_e32 v44, 0xbf5db3d7, v13
	v_fmac_f32_e32 v27, 0x3f5db3d7, v13
	v_add_f32_e32 v13, v14, v24
	v_add_f32_e32 v45, v13, v37
	;; [unrolled: 1-line block ×3, first 2 shown]
	v_fma_f32 v37, -0.5, v13, v14
	v_sub_f32_e32 v13, v55, v29
	v_mov_b32_e32 v29, v37
	v_fmac_f32_e32 v29, 0x3f5db3d7, v13
	v_fmac_f32_e32 v37, 0xbf5db3d7, v13
	v_add_f32_e32 v13, v21, v25
	v_add_f32_e32 v24, v13, v38
	v_add_f32_e32 v13, v25, v38
	v_fmac_f32_e32 v21, -0.5, v13
	v_sub_f32_e32 v13, v28, v41
	v_mov_b32_e32 v18, v21
	v_fmac_f32_e32 v18, 0xbf5db3d7, v13
	v_fmac_f32_e32 v21, 0x3f5db3d7, v13
	v_add_f32_e32 v13, v32, v28
	v_add_f32_e32 v46, v13, v41
	;; [unrolled: 1-line block ×3, first 2 shown]
	v_fmac_f32_e32 v32, -0.5, v13
	v_sub_f32_e32 v13, v25, v38
	v_mov_b32_e32 v20, v32
	v_fmac_f32_e32 v20, 0x3f5db3d7, v13
	v_fmac_f32_e32 v32, 0xbf5db3d7, v13
	v_mul_f32_e32 v28, 0xbf5db3d7, v32
	v_mul_f32_e32 v38, 0.5, v20
	v_mul_f32_e32 v32, -0.5, v32
	v_mul_f32_e32 v25, 0xbf5db3d7, v20
	v_fmac_f32_e32 v28, -0.5, v21
	v_fmac_f32_e32 v38, 0x3f5db3d7, v18
	v_fmac_f32_e32 v32, 0x3f5db3d7, v21
	v_fmac_f32_e32 v25, 0.5, v18
	v_add_f32_e32 v19, v27, v28
	v_add_f32_e32 v18, v29, v38
	;; [unrolled: 1-line block ×3, first 2 shown]
	v_sub_f32_e32 v28, v27, v28
	v_sub_f32_e32 v27, v29, v38
	;; [unrolled: 1-line block ×3, first 2 shown]
	v_add_f32_e32 v32, v50, v31
	v_add_f32_e32 v21, v15, v50
	v_fma_f32 v15, -0.5, v32, v15
	v_add_f32_e32 v13, v26, v24
	v_add_f32_e32 v17, v44, v25
	v_sub_f32_e32 v24, v26, v24
	v_sub_f32_e32 v26, v44, v25
	;; [unrolled: 1-line block ×3, first 2 shown]
	v_mov_b32_e32 v44, v15
	v_add_f32_e32 v37, v51, v39
	v_fmac_f32_e32 v44, 0xbf5db3d7, v32
	v_fmac_f32_e32 v15, 0x3f5db3d7, v32
	v_add_f32_e32 v32, v16, v51
	v_fmac_f32_e32 v16, -0.5, v37
	v_add_f32_e32 v14, v45, v46
	v_sub_f32_e32 v25, v45, v46
	v_add_f32_e32 v21, v21, v31
	v_sub_f32_e32 v31, v50, v31
	v_mov_b32_e32 v45, v16
	v_fmac_f32_e32 v45, 0x3f5db3d7, v31
	v_fmac_f32_e32 v16, 0xbf5db3d7, v31
	v_add_f32_e32 v31, v42, v52
	v_add_f32_e32 v41, v31, v40
	;; [unrolled: 1-line block ×3, first 2 shown]
	v_fmac_f32_e32 v42, -0.5, v31
	v_sub_f32_e32 v31, v30, v43
	v_mov_b32_e32 v38, v42
	v_fmac_f32_e32 v38, 0xbf5db3d7, v31
	v_fmac_f32_e32 v42, 0x3f5db3d7, v31
	v_add_f32_e32 v31, v49, v30
	v_add_f32_e32 v30, v30, v43
	v_fmac_f32_e32 v49, -0.5, v30
	v_sub_f32_e32 v30, v52, v40
	v_mov_b32_e32 v40, v49
	v_fmac_f32_e32 v40, 0x3f5db3d7, v30
	v_add_f32_e32 v46, v31, v43
	v_fmac_f32_e32 v49, 0xbf5db3d7, v30
	v_mul_f32_e32 v43, 0xbf5db3d7, v40
	v_mul_f32_e32 v48, 0.5, v40
	v_add_f32_e32 v32, v32, v39
	v_fmac_f32_e32 v43, 0.5, v38
	v_mul_f32_e32 v47, 0xbf5db3d7, v49
	v_fmac_f32_e32 v48, 0x3f5db3d7, v38
	v_mul_f32_e32 v49, -0.5, v49
	v_add_f32_e32 v30, v21, v41
	v_add_f32_e32 v37, v44, v43
	v_fmac_f32_e32 v47, -0.5, v42
	v_add_f32_e32 v31, v32, v46
	v_add_f32_e32 v38, v45, v48
	v_fmac_f32_e32 v49, 0x3f5db3d7, v42
	ds_write2_b64 v5, v[13:14], v[17:18] offset1:126
	v_add_u32_e32 v5, 0xc00, v5
	v_add_f32_e32 v39, v15, v47
	v_add_f32_e32 v40, v16, v49
	v_sub_f32_e32 v43, v44, v43
	v_sub_f32_e32 v15, v15, v47
	;; [unrolled: 1-line block ×4, first 2 shown]
	ds_write2_b64 v11, v[19:20], v[24:25] offset0:124 offset1:250
	ds_write2_b64 v5, v[26:27], v[28:29] offset0:120 offset1:246
	ds_write2_b64 v4, v[30:31], v[37:38] offset1:126
	v_add_u32_e32 v5, 0x400, v4
	v_add_u32_e32 v4, 0xc00, v4
	;; [unrolled: 1-line block ×3, first 2 shown]
	v_sub_f32_e32 v41, v21, v41
	v_sub_f32_e32 v42, v32, v46
	ds_write2_b64 v4, v[43:44], v[15:16] offset0:120 offset1:246
	v_mul_u32_u24_e32 v4, 0x70, v37
	v_subrev_u32_e32 v32, 54, v22
	ds_write2_b64 v5, v[39:40], v[41:42] offset0:124 offset1:250
	v_add3_u32 v11, 0, v4, v10
	v_cndmask_b32_e64 v4, v32, v22, s[2:3]
	v_mov_b32_e32 v5, 0
	v_lshlrev_b64 v[46:47], 3, v[4:5]
	s_waitcnt lgkmcnt(0)
	v_add_co_u32_e64 v46, s[0:1], s16, v46
	v_addc_co_u32_e64 v47, s[0:1], v12, v47, s[0:1]
	s_barrier
	ds_read2_b64 v[13:16], v6 offset1:252
	ds_read2_b64 v[17:20], v8 offset1:252
	ds_read_b64 v[38:39], v6 offset:4032
	ds_read2_b64 v[24:27], v9 offset1:252
	ds_read_b64 v[40:41], v11
	ds_read_b64 v[42:43], v6 offset:8064
	ds_read2_b64 v[28:31], v7 offset1:252
	ds_read_b64 v[44:45], v11 offset:4032
	global_load_dwordx2 v[46:47], v[46:47], off offset:360
	s_movk_i32 s0, 0x1f8
	v_subrev_u32_e32 v49, 36, v22
	v_cmp_gt_u32_e64 s[0:1], s0, v0
	s_waitcnt vmcnt(0) lgkmcnt(6)
	v_mul_f32_e32 v21, v47, v18
	v_fmac_f32_e32 v21, v46, v17
	v_mul_f32_e32 v17, v47, v17
	v_fma_f32 v48, v46, v18, -v17
	v_cndmask_b32_e64 v17, v49, v23, s[0:1]
	v_mov_b32_e32 v18, v5
	v_lshlrev_b64 v[46:47], 3, v[17:18]
	v_add_co_u32_e64 v46, s[4:5], s16, v46
	v_addc_co_u32_e64 v47, s[4:5], v12, v47, s[4:5]
	global_load_dwordx2 v[46:47], v[46:47], off offset:360
	s_movk_i32 s4, 0x2f3
	v_cmp_lt_u32_e64 s[4:5], s4, v0
	s_waitcnt vmcnt(0)
	v_mul_f32_e32 v50, v47, v20
	v_mul_f32_e32 v18, v47, v19
	v_fmac_f32_e32 v50, v46, v19
	v_fma_f32 v46, v46, v20, -v18
	v_mul_lo_u16_e32 v18, 19, v36
	v_lshrrev_b16_e32 v47, 10, v18
	v_mul_lo_u16_e32 v18, 54, v47
	v_sub_u16_e32 v18, v36, v18
	v_and_b32_e32 v51, 0xff, v18
	v_lshlrev_b32_e32 v18, 3, v51
	global_load_dwordx2 v[18:19], v18, s[16:17] offset:360
	v_sub_f32_e32 v20, v15, v50
	v_fma_f32 v15, v15, 2.0, -v20
	s_waitcnt vmcnt(0) lgkmcnt(4)
	v_mul_f32_e32 v52, v19, v25
	v_mul_f32_e32 v19, v19, v24
	v_fmac_f32_e32 v52, v18, v24
	v_fma_f32 v25, v18, v25, -v19
	v_mul_lo_u16_e32 v18, 19, v37
	v_lshrrev_b16_e32 v53, 10, v18
	v_mul_lo_u16_e32 v18, 54, v53
	v_sub_u16_e32 v18, v37, v18
	v_and_b32_e32 v54, 0xff, v18
	v_lshlrev_b32_e32 v18, 3, v54
	global_load_dwordx2 v[18:19], v18, s[16:17] offset:360
	v_sub_f32_e32 v24, v38, v52
	v_sub_f32_e32 v25, v39, v25
	s_waitcnt vmcnt(0)
	v_mul_f32_e32 v55, v19, v27
	v_mul_f32_e32 v19, v19, v26
	v_fmac_f32_e32 v55, v18, v26
	v_fma_f32 v56, v18, v27, -v19
	v_mul_lo_u16_e32 v18, 19, v2
	v_lshrrev_b16_e32 v57, 10, v18
	v_mul_lo_u16_e32 v18, 54, v57
	v_sub_u16_e32 v18, v2, v18
	v_and_b32_e32 v58, 0xff, v18
	v_lshlrev_b32_e32 v18, 3, v58
	global_load_dwordx2 v[18:19], v18, s[16:17] offset:360
	v_fma_f32 v26, v38, 2.0, -v24
	v_fma_f32 v27, v39, 2.0, -v25
	s_waitcnt vmcnt(0) lgkmcnt(1)
	v_mul_f32_e32 v59, v19, v29
	v_mul_f32_e32 v19, v19, v28
	v_fmac_f32_e32 v59, v18, v28
	v_fma_f32 v60, v18, v29, -v19
	v_mul_lo_u16_e32 v18, 19, v34
	v_lshrrev_b16_e32 v61, 10, v18
	v_mul_lo_u16_e32 v18, 54, v61
	v_sub_u16_e32 v18, v34, v18
	v_and_b32_e32 v62, 0xff, v18
	v_lshlrev_b32_e32 v18, 3, v62
	global_load_dwordx2 v[18:19], v18, s[16:17] offset:360
	s_waitcnt vmcnt(0) lgkmcnt(0)
	s_barrier
	v_sub_f32_e32 v28, v40, v55
	v_sub_f32_e32 v29, v41, v56
	;; [unrolled: 1-line block ×4, first 2 shown]
	v_mul_f32_e32 v63, v31, v19
	v_mul_f32_e32 v19, v30, v19
	v_fmac_f32_e32 v63, v30, v18
	v_fma_f32 v64, v31, v18, -v19
	v_sub_f32_e32 v18, v13, v21
	v_sub_f32_e32 v21, v16, v46
	v_mov_b32_e32 v46, 0x6c
	v_sub_f32_e32 v19, v14, v48
	v_cndmask_b32_e64 v48, 0, v46, s[4:5]
	v_add_u32_e32 v4, v4, v48
	v_mul_i32_i24_e32 v4, 0x70, v4
	s_movk_i32 s4, 0x1f7
	v_fma_f32 v13, v13, 2.0, -v18
	v_fma_f32 v14, v14, 2.0, -v19
	v_add3_u32 v4, 0, v4, v10
	v_cmp_lt_u32_e64 s[4:5], s4, v0
	ds_write_b64 v4, v[13:14]
	ds_write_b64 v4, v[18:19] offset:6048
	v_cndmask_b32_e64 v4, 0, v46, s[4:5]
	v_add_u32_e32 v4, v17, v4
	v_mul_i32_i24_e32 v4, 0x70, v4
	v_fma_f32 v16, v16, 2.0, -v21
	v_add3_u32 v4, 0, v4, v10
	ds_write_b64 v4, v[15:16]
	ds_write_b64 v4, v[20:21] offset:6048
	v_mad_u32_u24 v4, v47, s15, v51
	v_mul_u32_u24_e32 v4, 0x70, v4
	v_add3_u32 v4, 0, v4, v10
	ds_write_b64 v4, v[26:27]
	ds_write_b64 v4, v[24:25] offset:6048
	v_mad_u32_u24 v4, v53, s15, v54
	v_mul_u32_u24_e32 v4, 0x70, v4
	v_fma_f32 v30, v40, 2.0, -v28
	v_fma_f32 v31, v41, 2.0, -v29
	v_add3_u32 v4, 0, v4, v10
	ds_write_b64 v4, v[30:31]
	ds_write_b64 v4, v[28:29] offset:6048
	v_mad_u32_u24 v4, v57, s15, v58
	v_mul_u32_u24_e32 v4, 0x70, v4
	v_fma_f32 v40, v42, 2.0, -v38
	v_fma_f32 v41, v43, 2.0, -v39
	v_add3_u32 v4, 0, v4, v10
	ds_write_b64 v4, v[40:41]
	ds_write_b64 v4, v[38:39] offset:6048
	v_mad_u32_u24 v4, v61, s15, v62
	v_sub_f32_e32 v42, v44, v63
	v_sub_f32_e32 v43, v45, v64
	v_mul_u32_u24_e32 v4, 0x70, v4
	v_fma_f32 v44, v44, 2.0, -v42
	v_fma_f32 v45, v45, 2.0, -v43
	v_add3_u32 v4, 0, v4, v10
	ds_write_b64 v4, v[44:45]
	ds_write_b64 v4, v[42:43] offset:6048
	v_lshlrev_b32_e32 v4, 3, v22
	s_waitcnt lgkmcnt(0)
	s_barrier
	ds_read2_b64 v[13:16], v6 offset1:252
	ds_read2_b64 v[17:20], v8 offset1:252
	ds_read_b64 v[38:39], v6 offset:4032
	ds_read2_b64 v[24:27], v9 offset1:252
	ds_read_b64 v[43:44], v11
	ds_read_b64 v[45:46], v6 offset:8064
	ds_read2_b64 v[28:31], v7 offset1:252
	ds_read_b64 v[47:48], v11 offset:4032
	global_load_dwordx2 v[6:7], v4, s[16:17] offset:792
	v_cmp_gt_u32_e64 s[4:5], s14, v0
	v_cndmask_b32_e64 v10, v32, v37, s[2:3]
	v_mov_b32_e32 v11, v5
	v_cndmask_b32_e64 v8, v49, v2, s[0:1]
	v_mov_b32_e32 v9, v5
	s_waitcnt vmcnt(0) lgkmcnt(6)
	v_mul_f32_e32 v21, v7, v18
	v_mul_f32_e32 v7, v7, v17
	v_fmac_f32_e32 v21, v6, v17
	v_fma_f32 v40, v6, v18, -v7
	global_load_dwordx2 v[6:7], v4, s[16:17] offset:936
	s_waitcnt vmcnt(0)
	v_mul_f32_e32 v41, v7, v20
	v_mul_f32_e32 v4, v7, v19
	v_fmac_f32_e32 v41, v6, v19
	v_fma_f32 v19, v6, v20, -v4
	v_add_u32_e32 v4, 0xffffffb8, v22
	v_cndmask_b32_e64 v4, v4, v36, s[4:5]
	v_lshlrev_b64 v[6:7], 3, v[4:5]
	v_sub_f32_e32 v49, v15, v41
	v_add_co_u32_e64 v6, s[4:5], s16, v6
	v_addc_co_u32_e64 v7, s[4:5], v12, v7, s[4:5]
	global_load_dwordx2 v[6:7], v[6:7], off offset:792
	v_sub_f32_e32 v50, v16, v19
	v_fma_f32 v19, v15, 2.0, -v49
	v_fma_f32 v51, v16, 2.0, -v50
	s_waitcnt vmcnt(0) lgkmcnt(4)
	v_mul_f32_e32 v20, v7, v25
	v_mul_f32_e32 v7, v7, v24
	v_fmac_f32_e32 v20, v6, v24
	v_fma_f32 v24, v6, v25, -v7
	v_lshlrev_b64 v[6:7], 3, v[10:11]
	v_sub_f32_e32 v41, v38, v20
	v_add_co_u32_e64 v6, s[2:3], s16, v6
	v_addc_co_u32_e64 v7, s[2:3], v12, v7, s[2:3]
	global_load_dwordx2 v[6:7], v[6:7], off offset:792
	v_fma_f32 v52, v38, 2.0, -v41
	v_mov_b32_e32 v38, 0x1000
	v_sub_f32_e32 v42, v39, v24
	v_fma_f32 v53, v39, 2.0, -v42
	s_waitcnt vmcnt(0)
	v_mul_f32_e32 v25, v7, v27
	v_mul_f32_e32 v7, v7, v26
	v_fmac_f32_e32 v25, v6, v26
	v_fma_f32 v27, v6, v27, -v7
	v_lshlrev_b64 v[6:7], 3, v[8:9]
	s_waitcnt lgkmcnt(3)
	v_sub_f32_e32 v26, v43, v25
	v_add_co_u32_e64 v6, s[0:1], s16, v6
	v_addc_co_u32_e64 v7, s[0:1], v12, v7, s[0:1]
	global_load_dwordx2 v[6:7], v[6:7], off offset:792
	s_movk_i32 s0, 0xfc
	v_cmp_gt_u32_e64 s[0:1], s0, v0
	v_fma_f32 v24, v43, 2.0, -v26
	v_sub_f32_e32 v27, v44, v27
	v_fma_f32 v25, v44, 2.0, -v27
	s_waitcnt vmcnt(0) lgkmcnt(1)
	v_mul_f32_e32 v9, v7, v29
	v_mul_f32_e32 v7, v7, v28
	v_fmac_f32_e32 v9, v6, v28
	v_fma_f32 v28, v6, v29, -v7
	v_subrev_u32_e32 v6, 18, v22
	v_cndmask_b32_e64 v6, v6, v34, s[0:1]
	v_mov_b32_e32 v7, v5
	v_lshlrev_b64 v[17:18], 3, v[6:7]
	v_add_co_u32_e64 v11, s[0:1], s16, v17
	v_addc_co_u32_e64 v12, s[0:1], v12, v18, s[0:1]
	global_load_dwordx2 v[11:12], v[11:12], off offset:792
	v_sub_f32_e32 v17, v13, v21
	v_sub_f32_e32 v18, v14, v40
	v_mov_b32_e32 v40, 3
	v_fma_f32 v7, v13, 2.0, -v17
	v_fma_f32 v21, v14, 2.0, -v18
	s_waitcnt vmcnt(0)
	v_mul_f32_e32 v0, v31, v12
	v_fmac_f32_e32 v0, v30, v11
	v_mul_f32_e32 v5, v30, v12
	v_sub_f32_e32 v30, v45, v9
	v_mul_lo_u32 v9, v3, v22
	v_fma_f32 v5, v31, v11, -v5
	v_sub_f32_e32 v31, v46, v28
	v_fma_f32 v28, v45, 2.0, -v30
	v_lshlrev_b32_sdwa v11, v40, v9 dst_sel:DWORD dst_unused:UNUSED_PAD src0_sel:DWORD src1_sel:BYTE_0
	v_lshlrev_b32_sdwa v13, v40, v9 dst_sel:DWORD dst_unused:UNUSED_PAD src0_sel:DWORD src1_sel:BYTE_1
	global_load_dwordx2 v[11:12], v11, s[6:7]
	v_bfe_u32 v9, v9, 16, 8
	global_load_dwordx2 v[13:14], v13, s[6:7] offset:2048
	v_lshl_or_b32 v9, v9, 3, v38
	v_fma_f32 v29, v46, 2.0, -v31
	s_waitcnt lgkmcnt(0)
	v_sub_f32_e32 v5, v48, v5
	v_sub_f32_e32 v0, v47, v0
	v_fma_f32 v39, v48, 2.0, -v5
	v_fma_f32 v32, v47, 2.0, -v0
	s_waitcnt vmcnt(0)
	v_mul_f32_e32 v15, v12, v14
	v_mul_f32_e32 v14, v11, v14
	v_fma_f32 v15, v11, v13, -v15
	v_fmac_f32_e32 v14, v12, v13
	global_load_dwordx2 v[11:12], v9, s[6:7]
	s_waitcnt vmcnt(0)
	v_mul_f32_e32 v9, v14, v12
	v_mul_f32_e32 v12, v15, v12
	v_fmac_f32_e32 v12, v11, v14
	v_fma_f32 v9, v11, v15, -v9
	v_mul_f32_e32 v13, v21, v12
	v_fmac_f32_e32 v13, v7, v9
	v_mul_f32_e32 v7, v7, v12
	v_fma_f32 v14, v21, v9, -v7
	v_add_u32_e32 v7, 0x6c, v22
	v_mul_lo_u32 v9, v3, v7
	v_lshlrev_b32_sdwa v11, v40, v9 dst_sel:DWORD dst_unused:UNUSED_PAD src0_sel:DWORD src1_sel:BYTE_0
	v_lshlrev_b32_sdwa v15, v40, v9 dst_sel:DWORD dst_unused:UNUSED_PAD src0_sel:DWORD src1_sel:BYTE_1
	global_load_dwordx2 v[11:12], v11, s[6:7]
	v_bfe_u32 v9, v9, 16, 8
	global_load_dwordx2 v[15:16], v15, s[6:7] offset:2048
	v_lshl_or_b32 v9, v9, 3, v38
	s_waitcnt vmcnt(0)
	v_mul_f32_e32 v20, v12, v16
	v_mul_f32_e32 v16, v11, v16
	v_fma_f32 v20, v11, v15, -v20
	v_fmac_f32_e32 v16, v12, v15
	global_load_dwordx2 v[11:12], v9, s[6:7]
	s_waitcnt vmcnt(0)
	v_mul_f32_e32 v9, v16, v12
	v_mul_f32_e32 v12, v20, v12
	v_fmac_f32_e32 v12, v11, v16
	v_fma_f32 v9, v11, v20, -v9
	v_mul_f32_e32 v11, v18, v12
	v_mul_f32_e32 v12, v17, v12
	v_fmac_f32_e32 v11, v17, v9
	v_fma_f32 v12, v18, v9, -v12
	v_mul_lo_u32 v9, v3, v23
	v_mul_lo_u32 v23, v3, v4
	v_lshlrev_b32_sdwa v15, v40, v9 dst_sel:DWORD dst_unused:UNUSED_PAD src0_sel:DWORD src1_sel:BYTE_0
	v_lshlrev_b32_sdwa v17, v40, v9 dst_sel:DWORD dst_unused:UNUSED_PAD src0_sel:DWORD src1_sel:BYTE_1
	global_load_dwordx2 v[15:16], v15, s[6:7]
	v_bfe_u32 v9, v9, 16, 8
	global_load_dwordx2 v[17:18], v17, s[6:7] offset:2048
	v_lshl_or_b32 v9, v9, 3, v38
	s_waitcnt vmcnt(0)
	v_mul_f32_e32 v20, v16, v18
	v_mul_f32_e32 v18, v15, v18
	v_fma_f32 v20, v15, v17, -v20
	v_fmac_f32_e32 v18, v16, v17
	global_load_dwordx2 v[15:16], v9, s[6:7]
	s_waitcnt vmcnt(0)
	v_mul_f32_e32 v9, v18, v16
	v_mul_f32_e32 v16, v20, v16
	v_fmac_f32_e32 v16, v15, v18
	v_fma_f32 v9, v15, v20, -v9
	v_mul_f32_e32 v15, v51, v16
	v_mul_f32_e32 v16, v19, v16
	v_fmac_f32_e32 v15, v19, v9
	v_fma_f32 v16, v51, v9, -v16
	v_add_u32_e32 v9, 0x7e, v22
	v_mul_lo_u32 v21, v3, v9
	v_lshlrev_b32_sdwa v17, v40, v21 dst_sel:DWORD dst_unused:UNUSED_PAD src0_sel:DWORD src1_sel:BYTE_0
	v_lshlrev_b32_sdwa v19, v40, v21 dst_sel:DWORD dst_unused:UNUSED_PAD src0_sel:DWORD src1_sel:BYTE_1
	global_load_dwordx2 v[17:18], v17, s[6:7]
	s_nop 0
	global_load_dwordx2 v[19:20], v19, s[6:7] offset:2048
	s_waitcnt vmcnt(0)
	v_mul_f32_e32 v22, v18, v20
	v_fma_f32 v22, v17, v19, -v22
	v_mul_f32_e32 v20, v17, v20
	v_bfe_u32 v17, v21, 16, 8
	v_lshl_or_b32 v17, v17, 3, v38
	v_fmac_f32_e32 v20, v18, v19
	global_load_dwordx2 v[17:18], v17, s[6:7]
	v_lshlrev_b32_sdwa v21, v40, v23 dst_sel:DWORD dst_unused:UNUSED_PAD src0_sel:DWORD src1_sel:BYTE_1
	s_waitcnt vmcnt(0)
	v_mul_f32_e32 v19, v20, v18
	v_mul_f32_e32 v18, v22, v18
	v_fmac_f32_e32 v18, v17, v20
	v_fma_f32 v19, v17, v22, -v19
	v_mul_f32_e32 v17, v50, v18
	v_mul_f32_e32 v18, v49, v18
	v_fmac_f32_e32 v17, v49, v19
	v_fma_f32 v18, v50, v19, -v18
	v_lshlrev_b32_sdwa v19, v40, v23 dst_sel:DWORD dst_unused:UNUSED_PAD src0_sel:DWORD src1_sel:BYTE_0
	global_load_dwordx2 v[19:20], v19, s[6:7]
	s_nop 0
	global_load_dwordx2 v[21:22], v21, s[6:7] offset:2048
	s_waitcnt vmcnt(0)
	v_mul_f32_e32 v43, v20, v22
	v_fma_f32 v43, v19, v21, -v43
	v_mul_f32_e32 v22, v19, v22
	v_bfe_u32 v19, v23, 16, 8
	v_lshl_or_b32 v19, v19, 3, v38
	v_fmac_f32_e32 v22, v20, v21
	global_load_dwordx2 v[19:20], v19, s[6:7]
	s_waitcnt vmcnt(0)
	v_mul_f32_e32 v21, v22, v20
	v_mul_f32_e32 v20, v43, v20
	v_fmac_f32_e32 v20, v19, v22
	v_fma_f32 v21, v19, v43, -v21
	v_mul_f32_e32 v19, v53, v20
	v_mul_f32_e32 v20, v52, v20
	v_fmac_f32_e32 v19, v52, v21
	v_fma_f32 v20, v53, v21, -v20
	v_add_u32_e32 v21, 0x6c, v4
	v_mul_lo_u32 v23, v3, v21
	v_lshlrev_b32_sdwa v21, v40, v23 dst_sel:DWORD dst_unused:UNUSED_PAD src0_sel:DWORD src1_sel:BYTE_0
	v_lshlrev_b32_sdwa v43, v40, v23 dst_sel:DWORD dst_unused:UNUSED_PAD src0_sel:DWORD src1_sel:BYTE_1
	global_load_dwordx2 v[21:22], v21, s[6:7]
	s_nop 0
	global_load_dwordx2 v[43:44], v43, s[6:7] offset:2048
	s_waitcnt vmcnt(0)
	v_mul_f32_e32 v45, v22, v44
	v_fma_f32 v45, v21, v43, -v45
	v_mul_f32_e32 v44, v21, v44
	v_bfe_u32 v21, v23, 16, 8
	v_lshl_or_b32 v21, v21, 3, v38
	v_fmac_f32_e32 v44, v22, v43
	global_load_dwordx2 v[21:22], v21, s[6:7]
	s_waitcnt vmcnt(0)
	v_mul_f32_e32 v23, v44, v22
	v_mul_f32_e32 v22, v45, v22
	v_fmac_f32_e32 v22, v21, v44
	v_fma_f32 v23, v21, v45, -v23
	v_mul_f32_e32 v21, v42, v22
	v_mul_f32_e32 v22, v41, v22
	v_fmac_f32_e32 v21, v41, v23
	v_fma_f32 v22, v42, v23, -v22
	v_mul_lo_u32 v23, v3, v10
	v_lshlrev_b32_sdwa v41, v40, v23 dst_sel:DWORD dst_unused:UNUSED_PAD src0_sel:DWORD src1_sel:BYTE_0
	v_lshlrev_b32_sdwa v43, v40, v23 dst_sel:DWORD dst_unused:UNUSED_PAD src0_sel:DWORD src1_sel:BYTE_1
	global_load_dwordx2 v[41:42], v41, s[6:7]
	v_bfe_u32 v23, v23, 16, 8
	global_load_dwordx2 v[43:44], v43, s[6:7] offset:2048
	v_lshl_or_b32 v23, v23, 3, v38
	s_waitcnt vmcnt(0)
	v_mul_f32_e32 v45, v42, v44
	v_mul_f32_e32 v44, v41, v44
	v_fma_f32 v45, v41, v43, -v45
	v_fmac_f32_e32 v44, v42, v43
	global_load_dwordx2 v[41:42], v23, s[6:7]
	s_waitcnt vmcnt(0)
	v_mul_f32_e32 v23, v44, v42
	v_mul_f32_e32 v42, v45, v42
	v_fmac_f32_e32 v42, v41, v44
	v_fma_f32 v43, v41, v45, -v23
	v_mul_f32_e32 v23, v25, v42
	v_fmac_f32_e32 v23, v24, v43
	v_mul_f32_e32 v24, v24, v42
	v_fma_f32 v24, v25, v43, -v24
	v_add_u32_e32 v25, 0x6c, v10
	v_mul_lo_u32 v25, v3, v25
	v_lshlrev_b32_sdwa v41, v40, v25 dst_sel:DWORD dst_unused:UNUSED_PAD src0_sel:DWORD src1_sel:BYTE_0
	v_lshlrev_b32_sdwa v43, v40, v25 dst_sel:DWORD dst_unused:UNUSED_PAD src0_sel:DWORD src1_sel:BYTE_1
	global_load_dwordx2 v[41:42], v41, s[6:7]
	v_bfe_u32 v25, v25, 16, 8
	global_load_dwordx2 v[43:44], v43, s[6:7] offset:2048
	v_lshl_or_b32 v25, v25, 3, v38
	s_waitcnt vmcnt(0)
	v_mul_f32_e32 v45, v42, v44
	v_mul_f32_e32 v44, v41, v44
	v_fma_f32 v45, v41, v43, -v45
	v_fmac_f32_e32 v44, v42, v43
	global_load_dwordx2 v[41:42], v25, s[6:7]
	s_waitcnt vmcnt(0)
	v_mul_f32_e32 v25, v44, v42
	v_mul_f32_e32 v42, v45, v42
	v_fmac_f32_e32 v42, v41, v44
	v_fma_f32 v43, v41, v45, -v25
	v_mul_f32_e32 v25, v27, v42
	v_fmac_f32_e32 v25, v26, v43
	v_mul_f32_e32 v26, v26, v42
	v_fma_f32 v26, v27, v43, -v26
	v_mul_lo_u32 v27, v3, v8
	v_lshlrev_b32_sdwa v41, v40, v27 dst_sel:DWORD dst_unused:UNUSED_PAD src0_sel:DWORD src1_sel:BYTE_0
	v_lshlrev_b32_sdwa v43, v40, v27 dst_sel:DWORD dst_unused:UNUSED_PAD src0_sel:DWORD src1_sel:BYTE_1
	global_load_dwordx2 v[41:42], v41, s[6:7]
	v_bfe_u32 v27, v27, 16, 8
	global_load_dwordx2 v[43:44], v43, s[6:7] offset:2048
	v_lshl_or_b32 v27, v27, 3, v38
	s_waitcnt vmcnt(0)
	v_mul_f32_e32 v45, v42, v44
	v_mul_f32_e32 v44, v41, v44
	v_fma_f32 v45, v41, v43, -v45
	v_fmac_f32_e32 v44, v42, v43
	global_load_dwordx2 v[41:42], v27, s[6:7]
	s_waitcnt vmcnt(0)
	v_mul_f32_e32 v27, v44, v42
	v_mul_f32_e32 v42, v45, v42
	v_fmac_f32_e32 v42, v41, v44
	v_fma_f32 v43, v41, v45, -v27
	v_mul_f32_e32 v27, v29, v42
	v_fmac_f32_e32 v27, v28, v43
	v_mul_f32_e32 v28, v28, v42
	v_fma_f32 v28, v29, v43, -v28
	v_add_u32_e32 v29, 0x6c, v8
	v_mul_lo_u32 v29, v3, v29
	v_lshlrev_b32_sdwa v41, v40, v29 dst_sel:DWORD dst_unused:UNUSED_PAD src0_sel:DWORD src1_sel:BYTE_0
	v_lshlrev_b32_sdwa v43, v40, v29 dst_sel:DWORD dst_unused:UNUSED_PAD src0_sel:DWORD src1_sel:BYTE_1
	global_load_dwordx2 v[41:42], v41, s[6:7]
	v_bfe_u32 v29, v29, 16, 8
	global_load_dwordx2 v[43:44], v43, s[6:7] offset:2048
	v_lshl_or_b32 v29, v29, 3, v38
	s_waitcnt vmcnt(0)
	v_mul_f32_e32 v45, v42, v44
	v_mul_f32_e32 v44, v41, v44
	v_fma_f32 v45, v41, v43, -v45
	v_fmac_f32_e32 v44, v42, v43
	global_load_dwordx2 v[41:42], v29, s[6:7]
	s_waitcnt vmcnt(0)
	v_mul_f32_e32 v29, v44, v42
	v_mul_f32_e32 v42, v45, v42
	v_fmac_f32_e32 v42, v41, v44
	v_fma_f32 v43, v41, v45, -v29
	v_mul_f32_e32 v29, v31, v42
	v_fmac_f32_e32 v29, v30, v43
	v_mul_f32_e32 v30, v30, v42
	v_fma_f32 v30, v31, v43, -v30
	v_mul_lo_u32 v31, v3, v6
	v_lshlrev_b32_sdwa v41, v40, v31 dst_sel:DWORD dst_unused:UNUSED_PAD src0_sel:DWORD src1_sel:BYTE_0
	v_lshlrev_b32_sdwa v43, v40, v31 dst_sel:DWORD dst_unused:UNUSED_PAD src0_sel:DWORD src1_sel:BYTE_1
	global_load_dwordx2 v[41:42], v41, s[6:7]
	v_bfe_u32 v31, v31, 16, 8
	global_load_dwordx2 v[43:44], v43, s[6:7] offset:2048
	v_lshl_or_b32 v31, v31, 3, v38
	s_waitcnt vmcnt(0)
	v_mul_f32_e32 v45, v42, v44
	v_mul_f32_e32 v44, v41, v44
	v_fma_f32 v45, v41, v43, -v45
	v_fmac_f32_e32 v44, v42, v43
	global_load_dwordx2 v[41:42], v31, s[6:7]
	s_waitcnt vmcnt(0)
	v_mul_f32_e32 v31, v44, v42
	v_mul_f32_e32 v42, v45, v42
	v_fmac_f32_e32 v42, v41, v44
	v_fma_f32 v43, v41, v45, -v31
	v_mul_f32_e32 v31, v39, v42
	v_fmac_f32_e32 v31, v32, v43
	v_mul_f32_e32 v32, v32, v42
	v_fma_f32 v32, v39, v43, -v32
	v_add_u32_e32 v39, 0x6c, v6
	v_mul_lo_u32 v3, v3, v39
	v_lshlrev_b32_sdwa v39, v40, v3 dst_sel:DWORD dst_unused:UNUSED_PAD src0_sel:DWORD src1_sel:BYTE_0
	global_load_dwordx2 v[41:42], v39, s[6:7]
	v_lshlrev_b32_sdwa v39, v40, v3 dst_sel:DWORD dst_unused:UNUSED_PAD src0_sel:DWORD src1_sel:BYTE_1
	global_load_dwordx2 v[39:40], v39, s[6:7] offset:2048
	v_bfe_u32 v3, v3, 16, 8
	v_lshl_or_b32 v3, v3, 3, v38
	s_waitcnt vmcnt(0)
	v_mul_f32_e32 v43, v42, v40
	v_mul_f32_e32 v40, v41, v40
	v_fma_f32 v43, v41, v39, -v43
	v_fmac_f32_e32 v40, v42, v39
	global_load_dwordx2 v[38:39], v3, s[6:7]
	s_waitcnt vmcnt(0)
	v_mul_f32_e32 v3, v40, v39
	v_mul_f32_e32 v39, v43, v39
	v_fmac_f32_e32 v39, v38, v40
	v_fma_f32 v3, v38, v43, -v3
	v_mul_f32_e32 v38, v5, v39
	v_fmac_f32_e32 v38, v0, v3
	v_mul_f32_e32 v0, v0, v39
	v_fma_f32 v39, v5, v3, -v0
	v_mul_lo_u32 v0, s12, v7
	buffer_store_dwordx2 v[13:14], v33, s[8:11], s13 offen
	v_add_lshl_u32 v0, v1, v0, 3
	v_cndmask_b32_e32 v0, -1, v0, vcc
	buffer_store_dwordx2 v[11:12], v0, s[8:11], s13 offen
	v_cndmask_b32_e32 v0, -1, v35, vcc
	buffer_store_dwordx2 v[15:16], v0, s[8:11], s13 offen
	v_mul_lo_u32 v0, s12, v9
	v_add_lshl_u32 v0, v1, v0, 3
	v_cndmask_b32_e32 v0, -1, v0, vcc
	buffer_store_dwordx2 v[17:18], v0, s[8:11], s13 offen
	v_sub_u32_e32 v0, v36, v4
	v_add_u32_e32 v0, v0, v36
	v_mul_lo_u32 v3, s12, v0
	v_add_u32_e32 v0, 0x6c, v0
	v_mul_lo_u32 v0, s12, v0
	v_add_lshl_u32 v3, v1, v3, 3
	v_cndmask_b32_e32 v3, -1, v3, vcc
	v_add_lshl_u32 v0, v1, v0, 3
	v_cndmask_b32_e32 v0, -1, v0, vcc
	buffer_store_dwordx2 v[19:20], v3, s[8:11], s13 offen
	buffer_store_dwordx2 v[21:22], v0, s[8:11], s13 offen
	v_sub_u32_e32 v0, v37, v10
	v_add_u32_e32 v0, v0, v37
	v_mul_lo_u32 v3, s12, v0
	v_add_u32_e32 v0, 0x6c, v0
	v_mul_lo_u32 v0, s12, v0
	v_add_lshl_u32 v3, v1, v3, 3
	v_cndmask_b32_e32 v3, -1, v3, vcc
	v_add_lshl_u32 v0, v1, v0, 3
	v_cndmask_b32_e32 v0, -1, v0, vcc
	buffer_store_dwordx2 v[23:24], v3, s[8:11], s13 offen
	;; [unrolled: 11-line block ×4, first 2 shown]
	buffer_store_dwordx2 v[38:39], v0, s[8:11], s13 offen
	s_endpgm
	.section	.rodata,"a",@progbits
	.p2align	6, 0x0
	.amdhsa_kernel fft_rtc_back_len216_factors_9_6_2_2_wgs_252_tpt_18_dim3_sp_ip_CI_sbcc_twdbase8_3step_dirReg_intrinsicReadWrite
		.amdhsa_group_segment_fixed_size 0
		.amdhsa_private_segment_fixed_size 0
		.amdhsa_kernarg_size 88
		.amdhsa_user_sgpr_count 6
		.amdhsa_user_sgpr_private_segment_buffer 1
		.amdhsa_user_sgpr_dispatch_ptr 0
		.amdhsa_user_sgpr_queue_ptr 0
		.amdhsa_user_sgpr_kernarg_segment_ptr 1
		.amdhsa_user_sgpr_dispatch_id 0
		.amdhsa_user_sgpr_flat_scratch_init 0
		.amdhsa_user_sgpr_private_segment_size 0
		.amdhsa_uses_dynamic_stack 0
		.amdhsa_system_sgpr_private_segment_wavefront_offset 0
		.amdhsa_system_sgpr_workgroup_id_x 1
		.amdhsa_system_sgpr_workgroup_id_y 0
		.amdhsa_system_sgpr_workgroup_id_z 0
		.amdhsa_system_sgpr_workgroup_info 0
		.amdhsa_system_vgpr_workitem_id 0
		.amdhsa_next_free_vgpr 65
		.amdhsa_next_free_sgpr 28
		.amdhsa_reserve_vcc 1
		.amdhsa_reserve_flat_scratch 0
		.amdhsa_float_round_mode_32 0
		.amdhsa_float_round_mode_16_64 0
		.amdhsa_float_denorm_mode_32 3
		.amdhsa_float_denorm_mode_16_64 3
		.amdhsa_dx10_clamp 1
		.amdhsa_ieee_mode 1
		.amdhsa_fp16_overflow 0
		.amdhsa_exception_fp_ieee_invalid_op 0
		.amdhsa_exception_fp_denorm_src 0
		.amdhsa_exception_fp_ieee_div_zero 0
		.amdhsa_exception_fp_ieee_overflow 0
		.amdhsa_exception_fp_ieee_underflow 0
		.amdhsa_exception_fp_ieee_inexact 0
		.amdhsa_exception_int_div_zero 0
	.end_amdhsa_kernel
	.text
.Lfunc_end0:
	.size	fft_rtc_back_len216_factors_9_6_2_2_wgs_252_tpt_18_dim3_sp_ip_CI_sbcc_twdbase8_3step_dirReg_intrinsicReadWrite, .Lfunc_end0-fft_rtc_back_len216_factors_9_6_2_2_wgs_252_tpt_18_dim3_sp_ip_CI_sbcc_twdbase8_3step_dirReg_intrinsicReadWrite
                                        ; -- End function
	.section	.AMDGPU.csdata,"",@progbits
; Kernel info:
; codeLenInByte = 7724
; NumSgprs: 32
; NumVgprs: 65
; ScratchSize: 0
; MemoryBound: 0
; FloatMode: 240
; IeeeMode: 1
; LDSByteSize: 0 bytes/workgroup (compile time only)
; SGPRBlocks: 3
; VGPRBlocks: 16
; NumSGPRsForWavesPerEU: 32
; NumVGPRsForWavesPerEU: 65
; Occupancy: 3
; WaveLimiterHint : 0
; COMPUTE_PGM_RSRC2:SCRATCH_EN: 0
; COMPUTE_PGM_RSRC2:USER_SGPR: 6
; COMPUTE_PGM_RSRC2:TRAP_HANDLER: 0
; COMPUTE_PGM_RSRC2:TGID_X_EN: 1
; COMPUTE_PGM_RSRC2:TGID_Y_EN: 0
; COMPUTE_PGM_RSRC2:TGID_Z_EN: 0
; COMPUTE_PGM_RSRC2:TIDIG_COMP_CNT: 0
	.type	__hip_cuid_80bed029cb067995,@object ; @__hip_cuid_80bed029cb067995
	.section	.bss,"aw",@nobits
	.globl	__hip_cuid_80bed029cb067995
__hip_cuid_80bed029cb067995:
	.byte	0                               ; 0x0
	.size	__hip_cuid_80bed029cb067995, 1

	.ident	"AMD clang version 19.0.0git (https://github.com/RadeonOpenCompute/llvm-project roc-6.4.0 25133 c7fe45cf4b819c5991fe208aaa96edf142730f1d)"
	.section	".note.GNU-stack","",@progbits
	.addrsig
	.addrsig_sym __hip_cuid_80bed029cb067995
	.amdgpu_metadata
---
amdhsa.kernels:
  - .args:
      - .actual_access:  read_only
        .address_space:  global
        .offset:         0
        .size:           8
        .value_kind:     global_buffer
      - .address_space:  global
        .offset:         8
        .size:           8
        .value_kind:     global_buffer
      - .actual_access:  read_only
        .address_space:  global
        .offset:         16
        .size:           8
        .value_kind:     global_buffer
      - .actual_access:  read_only
        .address_space:  global
        .offset:         24
        .size:           8
        .value_kind:     global_buffer
      - .offset:         32
        .size:           8
        .value_kind:     by_value
      - .actual_access:  read_only
        .address_space:  global
        .offset:         40
        .size:           8
        .value_kind:     global_buffer
      - .actual_access:  read_only
        .address_space:  global
        .offset:         48
        .size:           8
        .value_kind:     global_buffer
      - .offset:         56
        .size:           4
        .value_kind:     by_value
      - .actual_access:  read_only
        .address_space:  global
        .offset:         64
        .size:           8
        .value_kind:     global_buffer
      - .actual_access:  read_only
        .address_space:  global
        .offset:         72
        .size:           8
        .value_kind:     global_buffer
      - .address_space:  global
        .offset:         80
        .size:           8
        .value_kind:     global_buffer
    .group_segment_fixed_size: 0
    .kernarg_segment_align: 8
    .kernarg_segment_size: 88
    .language:       OpenCL C
    .language_version:
      - 2
      - 0
    .max_flat_workgroup_size: 252
    .name:           fft_rtc_back_len216_factors_9_6_2_2_wgs_252_tpt_18_dim3_sp_ip_CI_sbcc_twdbase8_3step_dirReg_intrinsicReadWrite
    .private_segment_fixed_size: 0
    .sgpr_count:     32
    .sgpr_spill_count: 0
    .symbol:         fft_rtc_back_len216_factors_9_6_2_2_wgs_252_tpt_18_dim3_sp_ip_CI_sbcc_twdbase8_3step_dirReg_intrinsicReadWrite.kd
    .uniform_work_group_size: 1
    .uses_dynamic_stack: false
    .vgpr_count:     65
    .vgpr_spill_count: 0
    .wavefront_size: 64
amdhsa.target:   amdgcn-amd-amdhsa--gfx906
amdhsa.version:
  - 1
  - 2
...

	.end_amdgpu_metadata
